;; amdgpu-corpus repo=ROCm/rocFFT kind=compiled arch=gfx1030 opt=O3
	.text
	.amdgcn_target "amdgcn-amd-amdhsa--gfx1030"
	.amdhsa_code_object_version 6
	.protected	fft_rtc_back_len52_factors_13_4_wgs_64_tpt_4_halfLds_half_op_CI_CI_sbrr_dirReg ; -- Begin function fft_rtc_back_len52_factors_13_4_wgs_64_tpt_4_halfLds_half_op_CI_CI_sbrr_dirReg
	.globl	fft_rtc_back_len52_factors_13_4_wgs_64_tpt_4_halfLds_half_op_CI_CI_sbrr_dirReg
	.p2align	8
	.type	fft_rtc_back_len52_factors_13_4_wgs_64_tpt_4_halfLds_half_op_CI_CI_sbrr_dirReg,@function
fft_rtc_back_len52_factors_13_4_wgs_64_tpt_4_halfLds_half_op_CI_CI_sbrr_dirReg: ; @fft_rtc_back_len52_factors_13_4_wgs_64_tpt_4_halfLds_half_op_CI_CI_sbrr_dirReg
; %bb.0:
	s_clause 0x2
	s_load_dwordx4 s[16:19], s[4:5], 0x18
	s_load_dwordx4 s[8:11], s[4:5], 0x0
	;; [unrolled: 1-line block ×3, first 2 shown]
	v_lshrrev_b32_e32 v11, 2, v0
	v_mov_b32_e32 v7, 0
	v_mov_b32_e32 v5, 0
	;; [unrolled: 1-line block ×3, first 2 shown]
	s_waitcnt lgkmcnt(0)
	s_load_dwordx2 s[20:21], s[16:17], 0x0
	s_load_dwordx2 s[2:3], s[18:19], 0x0
	v_cmp_lt_u64_e64 s0, s[10:11], 2
	v_lshl_or_b32 v9, s6, 4, v11
	v_mov_b32_e32 v10, v7
	s_and_b32 vcc_lo, exec_lo, s0
	s_cbranch_vccnz .LBB0_8
; %bb.1:
	s_load_dwordx2 s[0:1], s[4:5], 0x10
	v_mov_b32_e32 v5, 0
	v_mov_b32_e32 v6, 0
	s_add_u32 s6, s18, 8
	s_addc_u32 s7, s19, 0
	v_mov_b32_e32 v1, v5
	s_add_u32 s22, s16, 8
	v_mov_b32_e32 v2, v6
	s_addc_u32 s23, s17, 0
	s_mov_b64 s[26:27], 1
	s_waitcnt lgkmcnt(0)
	s_add_u32 s24, s0, 8
	s_addc_u32 s25, s1, 0
.LBB0_2:                                ; =>This Inner Loop Header: Depth=1
	s_load_dwordx2 s[28:29], s[24:25], 0x0
                                        ; implicit-def: $vgpr3_vgpr4
	s_mov_b32 s0, exec_lo
	s_waitcnt lgkmcnt(0)
	v_or_b32_e32 v8, s29, v10
	v_cmpx_ne_u64_e32 0, v[7:8]
	s_xor_b32 s1, exec_lo, s0
	s_cbranch_execz .LBB0_4
; %bb.3:                                ;   in Loop: Header=BB0_2 Depth=1
	v_cvt_f32_u32_e32 v3, s28
	v_cvt_f32_u32_e32 v4, s29
	s_sub_u32 s0, 0, s28
	s_subb_u32 s30, 0, s29
	v_fmac_f32_e32 v3, 0x4f800000, v4
	v_rcp_f32_e32 v3, v3
	v_mul_f32_e32 v3, 0x5f7ffffc, v3
	v_mul_f32_e32 v4, 0x2f800000, v3
	v_trunc_f32_e32 v4, v4
	v_fmac_f32_e32 v3, 0xcf800000, v4
	v_cvt_u32_f32_e32 v4, v4
	v_cvt_u32_f32_e32 v3, v3
	v_mul_lo_u32 v8, s0, v4
	v_mul_hi_u32 v12, s0, v3
	v_mul_lo_u32 v13, s30, v3
	v_add_nc_u32_e32 v8, v12, v8
	v_mul_lo_u32 v12, s0, v3
	v_add_nc_u32_e32 v8, v8, v13
	v_mul_hi_u32 v13, v3, v12
	v_mul_lo_u32 v14, v3, v8
	v_mul_hi_u32 v15, v3, v8
	v_mul_hi_u32 v16, v4, v12
	v_mul_lo_u32 v12, v4, v12
	v_mul_hi_u32 v17, v4, v8
	v_mul_lo_u32 v8, v4, v8
	v_add_co_u32 v13, vcc_lo, v13, v14
	v_add_co_ci_u32_e32 v14, vcc_lo, 0, v15, vcc_lo
	v_add_co_u32 v12, vcc_lo, v13, v12
	v_add_co_ci_u32_e32 v12, vcc_lo, v14, v16, vcc_lo
	v_add_co_ci_u32_e32 v13, vcc_lo, 0, v17, vcc_lo
	v_add_co_u32 v8, vcc_lo, v12, v8
	v_add_co_ci_u32_e32 v12, vcc_lo, 0, v13, vcc_lo
	v_add_co_u32 v3, vcc_lo, v3, v8
	v_add_co_ci_u32_e32 v4, vcc_lo, v4, v12, vcc_lo
	v_mul_hi_u32 v8, s0, v3
	v_mul_lo_u32 v13, s30, v3
	v_mul_lo_u32 v12, s0, v4
	v_add_nc_u32_e32 v8, v8, v12
	v_mul_lo_u32 v12, s0, v3
	v_add_nc_u32_e32 v8, v8, v13
	v_mul_hi_u32 v13, v3, v12
	v_mul_lo_u32 v14, v3, v8
	v_mul_hi_u32 v15, v3, v8
	v_mul_hi_u32 v16, v4, v12
	v_mul_lo_u32 v12, v4, v12
	v_mul_hi_u32 v17, v4, v8
	v_mul_lo_u32 v8, v4, v8
	v_add_co_u32 v13, vcc_lo, v13, v14
	v_add_co_ci_u32_e32 v14, vcc_lo, 0, v15, vcc_lo
	v_add_co_u32 v12, vcc_lo, v13, v12
	v_add_co_ci_u32_e32 v12, vcc_lo, v14, v16, vcc_lo
	v_add_co_ci_u32_e32 v13, vcc_lo, 0, v17, vcc_lo
	v_add_co_u32 v8, vcc_lo, v12, v8
	v_add_co_ci_u32_e32 v12, vcc_lo, 0, v13, vcc_lo
	v_add_co_u32 v8, vcc_lo, v3, v8
	v_add_co_ci_u32_e32 v14, vcc_lo, v4, v12, vcc_lo
	v_mul_hi_u32 v16, v9, v8
	v_mad_u64_u32 v[12:13], null, v10, v8, 0
	v_mad_u64_u32 v[3:4], null, v9, v14, 0
	v_mad_u64_u32 v[14:15], null, v10, v14, 0
	v_add_co_u32 v3, vcc_lo, v16, v3
	v_add_co_ci_u32_e32 v4, vcc_lo, 0, v4, vcc_lo
	v_add_co_u32 v3, vcc_lo, v3, v12
	v_add_co_ci_u32_e32 v3, vcc_lo, v4, v13, vcc_lo
	v_add_co_ci_u32_e32 v4, vcc_lo, 0, v15, vcc_lo
	v_add_co_u32 v8, vcc_lo, v3, v14
	v_add_co_ci_u32_e32 v12, vcc_lo, 0, v4, vcc_lo
	v_mul_lo_u32 v13, s29, v8
	v_mad_u64_u32 v[3:4], null, s28, v8, 0
	v_mul_lo_u32 v14, s28, v12
	v_sub_co_u32 v3, vcc_lo, v9, v3
	v_add3_u32 v4, v4, v14, v13
	v_sub_nc_u32_e32 v13, v10, v4
	v_subrev_co_ci_u32_e64 v13, s0, s29, v13, vcc_lo
	v_add_co_u32 v14, s0, v8, 2
	v_add_co_ci_u32_e64 v15, s0, 0, v12, s0
	v_sub_co_u32 v16, s0, v3, s28
	v_sub_co_ci_u32_e32 v4, vcc_lo, v10, v4, vcc_lo
	v_subrev_co_ci_u32_e64 v13, s0, 0, v13, s0
	v_cmp_le_u32_e32 vcc_lo, s28, v16
	v_cmp_eq_u32_e64 s0, s29, v4
	v_cndmask_b32_e64 v16, 0, -1, vcc_lo
	v_cmp_le_u32_e32 vcc_lo, s29, v13
	v_cndmask_b32_e64 v17, 0, -1, vcc_lo
	v_cmp_le_u32_e32 vcc_lo, s28, v3
	;; [unrolled: 2-line block ×3, first 2 shown]
	v_cndmask_b32_e64 v18, 0, -1, vcc_lo
	v_cmp_eq_u32_e32 vcc_lo, s29, v13
	v_cndmask_b32_e64 v3, v18, v3, s0
	v_cndmask_b32_e32 v13, v17, v16, vcc_lo
	v_add_co_u32 v16, vcc_lo, v8, 1
	v_add_co_ci_u32_e32 v17, vcc_lo, 0, v12, vcc_lo
	v_cmp_ne_u32_e32 vcc_lo, 0, v13
	v_cndmask_b32_e32 v4, v17, v15, vcc_lo
	v_cndmask_b32_e32 v13, v16, v14, vcc_lo
	v_cmp_ne_u32_e32 vcc_lo, 0, v3
	v_cndmask_b32_e32 v4, v12, v4, vcc_lo
	v_cndmask_b32_e32 v3, v8, v13, vcc_lo
.LBB0_4:                                ;   in Loop: Header=BB0_2 Depth=1
	s_andn2_saveexec_b32 s0, s1
	s_cbranch_execz .LBB0_6
; %bb.5:                                ;   in Loop: Header=BB0_2 Depth=1
	v_cvt_f32_u32_e32 v3, s28
	s_sub_i32 s1, 0, s28
	v_rcp_iflag_f32_e32 v3, v3
	v_mul_f32_e32 v3, 0x4f7ffffe, v3
	v_cvt_u32_f32_e32 v3, v3
	v_mul_lo_u32 v4, s1, v3
	v_mul_hi_u32 v4, v3, v4
	v_add_nc_u32_e32 v3, v3, v4
	v_mul_hi_u32 v3, v9, v3
	v_mul_lo_u32 v4, v3, s28
	v_add_nc_u32_e32 v8, 1, v3
	v_sub_nc_u32_e32 v4, v9, v4
	v_subrev_nc_u32_e32 v12, s28, v4
	v_cmp_le_u32_e32 vcc_lo, s28, v4
	v_cndmask_b32_e32 v4, v4, v12, vcc_lo
	v_cndmask_b32_e32 v3, v3, v8, vcc_lo
	v_cmp_le_u32_e32 vcc_lo, s28, v4
	v_add_nc_u32_e32 v8, 1, v3
	v_mov_b32_e32 v4, v7
	v_cndmask_b32_e32 v3, v3, v8, vcc_lo
.LBB0_6:                                ;   in Loop: Header=BB0_2 Depth=1
	s_or_b32 exec_lo, exec_lo, s0
	v_mul_lo_u32 v8, v4, s28
	v_mul_lo_u32 v14, v3, s29
	s_load_dwordx2 s[0:1], s[22:23], 0x0
	v_mad_u64_u32 v[12:13], null, v3, s28, 0
	s_load_dwordx2 s[28:29], s[6:7], 0x0
	s_add_u32 s26, s26, 1
	s_addc_u32 s27, s27, 0
	s_add_u32 s6, s6, 8
	s_addc_u32 s7, s7, 0
	s_add_u32 s22, s22, 8
	v_add3_u32 v8, v13, v14, v8
	v_sub_co_u32 v9, vcc_lo, v9, v12
	s_addc_u32 s23, s23, 0
	s_add_u32 s24, s24, 8
	v_sub_co_ci_u32_e32 v8, vcc_lo, v10, v8, vcc_lo
	s_addc_u32 s25, s25, 0
	s_waitcnt lgkmcnt(0)
	v_mul_lo_u32 v10, s0, v8
	v_mul_lo_u32 v12, s1, v9
	v_mad_u64_u32 v[5:6], null, s0, v9, v[5:6]
	v_mul_lo_u32 v8, s28, v8
	v_mul_lo_u32 v13, s29, v9
	v_mad_u64_u32 v[1:2], null, s28, v9, v[1:2]
	v_cmp_ge_u64_e64 s0, s[26:27], s[10:11]
	v_add3_u32 v6, v12, v6, v10
	v_add3_u32 v2, v13, v2, v8
	s_and_b32 vcc_lo, exec_lo, s0
	s_cbranch_vccnz .LBB0_9
; %bb.7:                                ;   in Loop: Header=BB0_2 Depth=1
	v_mov_b32_e32 v10, v4
	v_mov_b32_e32 v9, v3
	s_branch .LBB0_2
.LBB0_8:
	v_mov_b32_e32 v1, v5
	v_mov_b32_e32 v3, v9
	;; [unrolled: 1-line block ×4, first 2 shown]
.LBB0_9:
	s_load_dwordx2 s[4:5], s[4:5], 0x28
	s_lshl_b64 s[6:7], s[10:11], 3
	v_and_b32_e32 v7, 3, v0
                                        ; implicit-def: $sgpr10
                                        ; implicit-def: $vgpr8
                                        ; implicit-def: $vgpr12
	s_waitcnt lgkmcnt(0)
	v_cmp_gt_u64_e64 s0, s[4:5], v[3:4]
	v_cmp_le_u64_e32 vcc_lo, s[4:5], v[3:4]
	s_add_u32 s4, s18, s6
	s_addc_u32 s5, s19, s7
	s_and_saveexec_b32 s1, vcc_lo
	s_xor_b32 s1, exec_lo, s1
; %bb.10:
	v_and_b32_e32 v7, 3, v0
	s_mov_b32 s10, 0
                                        ; implicit-def: $vgpr5_vgpr6
	v_or_b32_e32 v8, 4, v7
	v_or_b32_e32 v12, 8, v7
; %bb.11:
	s_or_saveexec_b32 s1, s1
	v_mov_b32_e32 v0, s10
                                        ; implicit-def: $vgpr44
                                        ; implicit-def: $vgpr31
                                        ; implicit-def: $vgpr43
                                        ; implicit-def: $vgpr32
                                        ; implicit-def: $vgpr42
                                        ; implicit-def: $vgpr33
                                        ; implicit-def: $vgpr40
                                        ; implicit-def: $vgpr34
                                        ; implicit-def: $vgpr39
                                        ; implicit-def: $vgpr35
                                        ; implicit-def: $vgpr37
                                        ; implicit-def: $vgpr36
                                        ; implicit-def: $vgpr30
                                        ; implicit-def: $vgpr38
                                        ; implicit-def: $vgpr29
                                        ; implicit-def: $vgpr41
                                        ; implicit-def: $vgpr17
                                        ; implicit-def: $vgpr45
                                        ; implicit-def: $vgpr16
                                        ; implicit-def: $vgpr46
                                        ; implicit-def: $vgpr15
                                        ; implicit-def: $vgpr47
                                        ; implicit-def: $vgpr14
                                        ; implicit-def: $vgpr49
	s_xor_b32 exec_lo, exec_lo, s1
	s_cbranch_execz .LBB0_13
; %bb.12:
	s_add_u32 s6, s16, s6
	s_addc_u32 s7, s17, s7
	v_mad_u64_u32 v[9:10], null, s20, v7, 0
	s_load_dwordx2 s[6:7], s[6:7], 0x0
	v_or_b32_e32 v8, 4, v7
	v_or_b32_e32 v12, 8, v7
	;; [unrolled: 1-line block ×4, first 2 shown]
	v_lshlrev_b64 v[5:6], 2, v[5:6]
	v_mov_b32_e32 v0, v10
	v_mad_u64_u32 v[13:14], null, s20, v8, 0
	v_mad_u64_u32 v[15:16], null, s20, v12, 0
	;; [unrolled: 1-line block ×4, first 2 shown]
	v_mov_b32_e32 v0, v14
	v_mad_u64_u32 v[22:23], null, s20, v28, 0
	v_mov_b32_e32 v14, v16
	v_mov_b32_e32 v16, v18
	s_waitcnt lgkmcnt(0)
	v_mul_lo_u32 v10, s7, v3
	v_mul_lo_u32 v24, s6, v4
	v_mad_u64_u32 v[19:20], null, s6, v3, 0
	v_or_b32_e32 v29, 28, v7
	v_or_b32_e32 v31, 36, v7
	;; [unrolled: 1-line block ×5, first 2 shown]
	v_add3_u32 v20, v20, v24, v10
	v_mad_u64_u32 v[24:25], null, s21, v8, v[0:1]
	v_mad_u64_u32 v[25:26], null, s21, v12, v[14:15]
	v_lshlrev_b64 v[18:19], 2, v[19:20]
	v_mov_b32_e32 v10, v21
	v_mad_u64_u32 v[20:21], null, s21, v27, v[16:17]
	v_mov_b32_e32 v14, v24
	v_or_b32_e32 v21, 20, v7
	v_add_co_u32 v0, vcc_lo, s12, v18
	v_add_co_ci_u32_e32 v18, vcc_lo, s13, v19, vcc_lo
	v_mov_b32_e32 v16, v25
	v_add_co_u32 v37, vcc_lo, v0, v5
	v_mov_b32_e32 v0, v23
	v_add_co_ci_u32_e32 v45, vcc_lo, v18, v6, vcc_lo
	v_lshlrev_b64 v[5:6], 2, v[13:14]
	v_lshlrev_b64 v[13:14], 2, v[15:16]
	v_mov_b32_e32 v18, v20
	v_mad_u64_u32 v[15:16], null, s21, v28, v[0:1]
	v_mad_u64_u32 v[19:20], null, s20, v21, 0
	v_or_b32_e32 v28, 24, v7
	v_lshlrev_b64 v[9:10], 2, v[9:10]
	v_lshlrev_b64 v[16:17], 2, v[17:18]
	v_mad_u64_u32 v[26:27], null, s20, v29, 0
	v_mad_u64_u32 v[24:25], null, s20, v28, 0
	v_add_co_u32 v9, vcc_lo, v37, v9
	v_mov_b32_e32 v0, v20
	v_add_co_ci_u32_e32 v10, vcc_lo, v45, v10, vcc_lo
	v_add_co_u32 v5, vcc_lo, v37, v5
	v_add_co_ci_u32_e32 v6, vcc_lo, v45, v6, vcc_lo
	v_add_co_u32 v13, vcc_lo, v37, v13
	v_mov_b32_e32 v23, v15
	v_mad_u64_u32 v[20:21], null, s21, v21, v[0:1]
	v_mov_b32_e32 v0, v25
	v_add_co_ci_u32_e32 v14, vcc_lo, v45, v14, vcc_lo
	v_add_co_u32 v15, vcc_lo, v37, v16
	v_add_co_ci_u32_e32 v16, vcc_lo, v45, v17, vcc_lo
	v_lshlrev_b64 v[17:18], 2, v[22:23]
	v_mad_u64_u32 v[22:23], null, s21, v28, v[0:1]
	v_mov_b32_e32 v21, v27
	v_mad_u64_u32 v[39:40], null, s20, v32, 0
	v_lshlrev_b64 v[19:20], 2, v[19:20]
	v_mad_u64_u32 v[41:42], null, s20, v46, 0
	v_mad_u64_u32 v[27:28], null, s21, v29, v[21:22]
	v_or_b32_e32 v29, 32, v7
	v_mov_b32_e32 v25, v22
	v_add_co_u32 v17, vcc_lo, v37, v17
	v_add_co_ci_u32_e32 v18, vcc_lo, v45, v18, vcc_lo
	v_mad_u64_u32 v[21:22], null, s20, v29, 0
	v_lshlrev_b64 v[23:24], 2, v[24:25]
	v_lshlrev_b64 v[25:26], 2, v[26:27]
	v_mad_u64_u32 v[27:28], null, s20, v31, 0
	v_add_co_u32 v19, vcc_lo, v37, v19
	v_mov_b32_e32 v0, v22
	v_mad_u64_u32 v[43:44], null, s20, v47, 0
	v_add_co_ci_u32_e32 v20, vcc_lo, v45, v20, vcc_lo
	v_mad_u64_u32 v[29:30], null, s21, v29, v[0:1]
	v_mov_b32_e32 v0, v28
	v_mov_b32_e32 v28, v40
	v_add_co_u32 v23, vcc_lo, v37, v23
	v_add_co_ci_u32_e32 v24, vcc_lo, v45, v24, vcc_lo
	v_mov_b32_e32 v22, v29
	v_mad_u64_u32 v[29:30], null, s21, v31, v[0:1]
	v_mov_b32_e32 v0, v42
	v_add_co_u32 v25, vcc_lo, v37, v25
	v_add_co_ci_u32_e32 v26, vcc_lo, v45, v26, vcc_lo
	v_mad_u64_u32 v[30:31], null, s21, v32, v[28:29]
	s_clause 0x6
	global_load_dword v31, v[5:6], off
	global_load_dword v32, v[13:14], off
	;; [unrolled: 1-line block ×7, first 2 shown]
	v_mad_u64_u32 v[13:14], null, s21, v46, v[0:1]
	v_mov_b32_e32 v0, v44
	v_mov_b32_e32 v28, v29
	v_lshlrev_b64 v[5:6], 2, v[21:22]
	v_mov_b32_e32 v40, v30
	v_mad_u64_u32 v[16:17], null, s21, v47, v[0:1]
	v_lshlrev_b64 v[14:15], 2, v[27:28]
	v_add_co_u32 v5, vcc_lo, v37, v5
	v_lshlrev_b64 v[17:18], 2, v[39:40]
	v_mov_b32_e32 v42, v13
	v_add_co_ci_u32_e32 v6, vcc_lo, v45, v6, vcc_lo
	v_add_co_u32 v13, vcc_lo, v37, v14
	v_mov_b32_e32 v44, v16
	v_add_co_ci_u32_e32 v14, vcc_lo, v45, v15, vcc_lo
	v_lshlrev_b64 v[19:20], 2, v[41:42]
	v_add_co_u32 v15, vcc_lo, v37, v17
	v_add_co_ci_u32_e32 v16, vcc_lo, v45, v18, vcc_lo
	v_lshlrev_b64 v[17:18], 2, v[43:44]
	v_add_co_u32 v19, vcc_lo, v37, v19
	v_add_co_ci_u32_e32 v20, vcc_lo, v45, v20, vcc_lo
	v_add_co_u32 v17, vcc_lo, v37, v17
	v_add_co_ci_u32_e32 v18, vcc_lo, v45, v18, vcc_lo
	s_clause 0x5
	global_load_dword v41, v[5:6], off
	global_load_dword v45, v[13:14], off
	;; [unrolled: 1-line block ×6, first 2 shown]
	s_waitcnt vmcnt(12)
	v_lshrrev_b32_e32 v44, 16, v31
	s_waitcnt vmcnt(11)
	v_lshrrev_b32_e32 v43, 16, v32
	;; [unrolled: 2-line block ×12, first 2 shown]
.LBB0_13:
	s_or_b32 exec_lo, exec_lo, s1
	s_waitcnt vmcnt(0)
	v_add_f16_e32 v5, v31, v0
	v_mul_u32_u24_e32 v6, 52, v11
	v_sub_f16_e32 v10, v44, v14
	v_add_f16_e32 v9, v31, v49
	v_sub_f16_e32 v13, v43, v15
	v_add_f16_e32 v5, v32, v5
	v_add_f16_e32 v11, v32, v47
	v_sub_f16_e32 v18, v42, v16
	v_add_f16_e32 v19, v33, v46
	v_pk_mul_f16 v27, 0xbb7bba95, v13 op_sel_hi:[1,0]
	v_add_f16_e32 v5, v33, v5
	v_sub_f16_e32 v21, v40, v17
	v_pk_mul_f16 v28, 0xb3a8bbf1, v18 op_sel_hi:[1,0]
	v_add_f16_e32 v20, v34, v45
	v_pk_fma_f16 v57, 0xb5ac388b, v11, v27 op_sel_hi:[1,0,1]
	v_add_f16_e32 v25, v34, v5
	v_lshl_add_u32 v5, v6, 1, 0
	v_pk_mul_f16 v6, 0xba95b770, v10 op_sel_hi:[1,0]
	v_sub_f16_e32 v23, v39, v29
	v_pk_mul_f16 v50, 0x394ebb7b, v21 op_sel_hi:[1,0]
	v_pk_fma_f16 v59, 0xbbc42fb7, v19, v28 op_sel_hi:[1,0,1]
	v_add_f16_e32 v22, v35, v41
	v_pk_fma_f16 v48, 0x388b3b15, v9, v6 op_sel_hi:[1,0,1]
	v_pk_mul_f16 v51, 0x3bf1b94e, v23 op_sel_hi:[1,0]
	v_pk_mul_f16 v53, 0xbb7bbbf1, v10 op_sel_hi:[1,0]
	;; [unrolled: 1-line block ×4, first 2 shown]
	v_pk_add_f16 v58, v48, v0 op_sel_hi:[1,0]
	v_pk_mul_f16 v13, 0x37703bf1, v13 op_sel_hi:[1,0]
	v_pk_fma_f16 v60, 0x2fb7b9fd, v22, v51 op_sel_hi:[1,0,1]
	v_pk_fma_f16 v62, 0xbbc4b9fd, v9, v10 op_sel_hi:[1,0,1]
	v_pk_fma_f16 v10, 0xbbc4b9fd, v9, v10 op_sel_hi:[1,0,1] neg_lo:[0,0,1] neg_hi:[0,0,1]
	v_pk_add_f16 v57, v57, v58
	v_pk_fma_f16 v58, 0xb9fdb5ac, v20, v50 op_sel_hi:[1,0,1]
	v_pk_fma_f16 v61, 0xb5ac2fb7, v9, v53 op_sel_hi:[1,0,1]
	v_add_f16_e32 v25, v35, v25
	v_pk_add_f16 v10, v10, v0 op_sel_hi:[1,0]
	v_pk_add_f16 v57, v59, v57
	v_pk_fma_f16 v59, 0xb9fdbbc4, v11, v54 op_sel_hi:[1,0,1]
	v_pk_add_f16 v61, v61, v0 op_sel_hi:[1,0]
	v_pk_fma_f16 v6, 0x388b3b15, v9, v6 op_sel_hi:[1,0,1] neg_lo:[0,0,1] neg_hi:[0,0,1]
	v_add_f16_e32 v25, v36, v25
	v_pk_add_f16 v57, v58, v57
	v_pk_mul_f16 v55, 0x37703b7b, v18 op_sel_hi:[1,0]
	v_pk_add_f16 v59, v59, v61
	v_pk_mul_f16 v61, 0xb94eba95, v18 op_sel_hi:[1,0]
	v_pk_add_f16 v62, v62, v0 op_sel_hi:[1,0]
	v_pk_add_f16 v57, v60, v57
	v_pk_fma_f16 v60, 0x3b152fb7, v11, v13 op_sel_hi:[1,0,1]
	v_pk_fma_f16 v13, 0x3b152fb7, v11, v13 op_sel_hi:[1,0,1] neg_lo:[0,0,1] neg_hi:[0,0,1]
	v_pk_add_f16 v6, v6, v0 op_sel_hi:[1,0]
	v_add_f16_e32 v25, v38, v25
	v_pk_mul_f16 v56, 0xbbf13770, v21 op_sel_hi:[1,0]
	v_pk_fma_f16 v58, 0x3b15b5ac, v19, v55 op_sel_hi:[1,0,1]
	v_pk_add_f16 v10, v13, v10
	v_pk_fma_f16 v13, 0xb5ac2fb7, v9, v53 op_sel_hi:[1,0,1] neg_lo:[0,0,1] neg_hi:[0,0,1]
	v_pk_fma_f16 v53, 0xb9fdbbc4, v11, v54 op_sel_hi:[1,0,1] neg_lo:[0,0,1] neg_hi:[0,0,1]
	;; [unrolled: 1-line block ×3, first 2 shown]
	v_pk_mul_f16 v21, 0x3a9533a8, v21 op_sel_hi:[1,0]
	v_pk_fma_f16 v54, 0xb9fd388b, v19, v61 op_sel_hi:[1,0,1] neg_lo:[0,0,1] neg_hi:[0,0,1]
	v_pk_add_f16 v13, v13, v0 op_sel_hi:[1,0]
	v_pk_add_f16 v60, v60, v62
	v_pk_fma_f16 v62, 0xb9fd388b, v19, v61 op_sel_hi:[1,0,1]
	v_pk_add_f16 v6, v11, v6
	v_pk_fma_f16 v11, 0xbbc42fb7, v19, v28 op_sel_hi:[1,0,1] neg_lo:[0,0,1] neg_hi:[0,0,1]
	v_pk_add_f16 v13, v53, v13
	v_pk_fma_f16 v53, 0x3b15b5ac, v19, v55 op_sel_hi:[1,0,1] neg_lo:[0,0,1] neg_hi:[0,0,1]
	v_add_f16_e32 v25, v41, v25
	v_sub_f16_e32 v26, v37, v30
	v_pk_add_f16 v18, v58, v59
	v_pk_mul_f16 v59, 0x33a8ba95, v23 op_sel_hi:[1,0]
	v_pk_mul_f16 v23, 0xbb7b3770, v23 op_sel_hi:[1,0]
	v_pk_add_f16 v10, v54, v10
	v_pk_fma_f16 v19, 0x388bbbc4, v20, v21 op_sel_hi:[1,0,1] neg_lo:[0,0,1] neg_hi:[0,0,1]
	v_pk_add_f16 v60, v62, v60
	v_pk_fma_f16 v62, 0x388bbbc4, v20, v21 op_sel_hi:[1,0,1]
	v_pk_add_f16 v13, v53, v13
	v_pk_fma_f16 v21, 0x2fb73b15, v20, v56 op_sel_hi:[1,0,1] neg_lo:[0,0,1] neg_hi:[0,0,1]
	v_pk_add_f16 v6, v11, v6
	v_pk_fma_f16 v11, 0xb9fdb5ac, v20, v50 op_sel_hi:[1,0,1] neg_lo:[0,0,1] neg_hi:[0,0,1]
	v_add_f16_e32 v25, v45, v25
	v_add_f16_e32 v24, v36, v38
	v_pk_mul_f16 v52, 0x3770b3a8, v26 op_sel_hi:[1,0]
	v_pk_fma_f16 v58, 0x2fb73b15, v20, v56 op_sel_hi:[1,0,1]
	v_pk_mul_f16 v64, 0x3a95b94e, v26 op_sel_hi:[1,0]
	v_pk_mul_f16 v26, 0x3bf1bb7b, v26 op_sel_hi:[1,0]
	v_pk_add_f16 v10, v19, v10
	v_pk_fma_f16 v19, 0xb5ac3b15, v22, v23 op_sel_hi:[1,0,1] neg_lo:[0,0,1] neg_hi:[0,0,1]
	v_pk_add_f16 v13, v21, v13
	v_pk_fma_f16 v20, 0xbbc4388b, v22, v59 op_sel_hi:[1,0,1] neg_lo:[0,0,1] neg_hi:[0,0,1]
	;; [unrolled: 2-line block ×3, first 2 shown]
	v_add_f16_e32 v25, v46, v25
	v_pk_add_f16 v18, v58, v18
	v_pk_fma_f16 v58, 0xbbc4388b, v22, v59 op_sel_hi:[1,0,1]
	v_pk_add_f16 v60, v62, v60
	v_pk_fma_f16 v27, 0xb5ac3b15, v22, v23 op_sel_hi:[1,0,1]
	v_pk_add_f16 v10, v19, v10
	v_pk_fma_f16 v19, 0x2fb7b5ac, v24, v26 op_sel_hi:[1,0,1] neg_lo:[0,0,1] neg_hi:[0,0,1]
	v_pk_add_f16 v13, v20, v13
	v_pk_fma_f16 v20, 0x388bb9fd, v24, v64 op_sel_hi:[1,0,1] neg_lo:[0,0,1] neg_hi:[0,0,1]
	;; [unrolled: 2-line block ×3, first 2 shown]
	v_add_f16_e32 v25, v47, v25
	v_mad_u32_u24 v48, v7, 26, v5
	v_pk_fma_f16 v63, 0x3b15bbc4, v24, v52 op_sel_hi:[1,0,1]
	v_pk_add_f16 v58, v58, v18
	v_pk_fma_f16 v9, 0x388bb9fd, v24, v64 op_sel_hi:[1,0,1]
	v_pk_add_f16 v21, v27, v60
	;; [unrolled: 2-line block ×3, first 2 shown]
	v_pk_add_f16 v13, v20, v13
	v_pk_add_f16 v6, v11, v6
	v_add_f16_e32 v25, v49, v25
	v_lshl_add_u32 v51, v7, 1, v5
	v_pk_add_f16 v18, v63, v57
	v_pk_add_f16 v19, v9, v58
	;; [unrolled: 1-line block ×3, first 2 shown]
	v_alignbit_b32 v21, v10, v10, 16
	v_mad_i32_i24 v50, 0xffffffe8, v7, v48
	v_alignbit_b32 v9, v13, v13, 16
	v_alignbit_b32 v10, v6, v6, 16
	s_load_dwordx2 s[4:5], s[4:5], 0x0
	ds_write_b16 v48, v25
	ds_write_b128 v48, v[18:21] offset:2
	ds_write_b64 v48, v[9:10] offset:18
	s_waitcnt lgkmcnt(0)
	s_barrier
	buffer_gl0_inv
	v_lshl_add_u32 v52, v8, 1, v5
	v_lshl_add_u32 v53, v12, 1, v5
	ds_read_u16 v22, v51
	ds_read_u16 v26, v50 offset:26
	ds_read_u16 v19, v50 offset:34
	;; [unrolled: 1-line block ×8, first 2 shown]
	ds_read_u16 v18, v53
	ds_read_u16 v13, v52
	ds_read_u16 v25, v50 offset:94
	v_cmp_eq_u32_e32 vcc_lo, 0, v7
                                        ; implicit-def: $vgpr9
                                        ; implicit-def: $vgpr10
                                        ; implicit-def: $vgpr11
	s_and_saveexec_b32 s1, vcc_lo
	s_cbranch_execz .LBB0_15
; %bb.14:
	ds_read_u16 v6, v5 offset:24
	ds_read_u16 v9, v5 offset:50
	ds_read_u16 v10, v5 offset:76
	ds_read_u16 v11, v5 offset:102
.LBB0_15:
	s_or_b32 exec_lo, exec_lo, s1
	v_add_f16_sdwa v54, v44, v0 dst_sel:DWORD dst_unused:UNUSED_PAD src0_sel:DWORD src1_sel:WORD_1
	v_sub_f16_e32 v31, v31, v49
	v_add_f16_e32 v49, v43, v15
	v_sub_f16_e32 v32, v32, v47
	v_add_f16_e32 v47, v42, v16
	v_add_f16_e32 v43, v43, v54
	v_sub_f16_e32 v36, v36, v38
	v_add_f16_e32 v44, v44, v14
	v_sub_f16_e32 v33, v33, v46
	v_add_f16_e32 v46, v40, v17
	v_add_f16_e32 v42, v42, v43
	;; [unrolled: 5-line block ×3, first 2 shown]
	v_pk_mul_f16 v40, 0xba95b770, v31 op_sel_hi:[1,0]
	v_pk_mul_f16 v42, 0xbb7bba95, v32 op_sel_hi:[1,0]
	;; [unrolled: 1-line block ×4, first 2 shown]
	v_add_f16_e32 v38, v39, v38
	v_pk_fma_f16 v59, 0x388b3b15, v44, v40 op_sel_hi:[1,0,1] neg_lo:[0,0,1] neg_hi:[0,0,1]
	v_pk_mul_f16 v56, 0xbb7bbbf1, v31 op_sel_hi:[1,0]
	v_pk_fma_f16 v60, 0xb5ac388b, v49, v42 op_sel_hi:[1,0,1] neg_lo:[0,0,1] neg_hi:[0,0,1]
	v_pk_mul_f16 v57, 0x394eb3a8, v32 op_sel_hi:[1,0]
	v_add_f16_e32 v37, v37, v38
	v_pk_add_f16 v59, v59, v0 op_sel:[0,1]
	v_pk_fma_f16 v61, 0xb9fdb5ac, v46, v54 op_sel_hi:[1,0,1] neg_lo:[0,0,1] neg_hi:[0,0,1]
	v_pk_mul_f16 v39, 0x3bf1b94e, v35 op_sel_hi:[1,0]
	v_pk_mul_f16 v38, 0x37703b7b, v33 op_sel_hi:[1,0]
	v_add_f16_e32 v30, v30, v37
	v_pk_fma_f16 v37, 0xbbc42fb7, v47, v45 op_sel_hi:[1,0,1] neg_lo:[0,0,1] neg_hi:[0,0,1]
	v_pk_mul_f16 v55, 0x3770b3a8, v36 op_sel_hi:[1,0]
	v_pk_mul_f16 v58, 0xbbf13770, v34 op_sel_hi:[1,0]
	v_pk_fma_f16 v62, 0x2fb7b9fd, v43, v39 op_sel_hi:[1,0,1] neg_lo:[0,0,1] neg_hi:[0,0,1]
	v_add_f16_e32 v29, v29, v30
	v_pk_fma_f16 v30, 0x388b3b15, v44, v40 op_sel_hi:[1,0,1]
	v_pk_fma_f16 v40, 0xb5ac388b, v49, v42 op_sel_hi:[1,0,1]
	;; [unrolled: 1-line block ×3, first 2 shown]
	v_pk_add_f16 v45, v60, v59
	v_add_f16_e32 v17, v17, v29
	v_pk_fma_f16 v29, 0xb9fdb5ac, v46, v54 op_sel_hi:[1,0,1]
	v_pk_add_f16 v30, v30, v0 op_sel:[0,1]
	v_pk_fma_f16 v54, 0xb5ac2fb7, v44, v56 op_sel_hi:[1,0,1] neg_lo:[0,0,1] neg_hi:[0,0,1]
	v_pk_add_f16 v37, v37, v45
	v_add_f16_e32 v16, v16, v17
	v_pk_fma_f16 v17, 0xb9fdbbc4, v49, v57 op_sel_hi:[1,0,1] neg_lo:[0,0,1] neg_hi:[0,0,1]
	v_pk_add_f16 v30, v40, v30
	v_pk_add_f16 v40, v54, v0 op_sel:[0,1]
	v_pk_add_f16 v37, v61, v37
	v_add_f16_e32 v15, v15, v16
	v_pk_fma_f16 v16, 0x3b15b5ac, v47, v38 op_sel_hi:[1,0,1] neg_lo:[0,0,1] neg_hi:[0,0,1]
	v_pk_add_f16 v30, v42, v30
	v_pk_add_f16 v17, v17, v40
	;; [unrolled: 1-line block ×3, first 2 shown]
	v_add_f16_e32 v40, v14, v15
	v_pk_fma_f16 v14, 0x3b15bbc4, v41, v55 op_sel_hi:[1,0,1] neg_lo:[0,0,1] neg_hi:[0,0,1]
	v_pk_add_f16 v15, v29, v30
	v_pk_fma_f16 v30, 0x2fb7b9fd, v43, v39 op_sel_hi:[1,0,1]
	v_pk_add_f16 v16, v16, v17
	v_pk_fma_f16 v17, 0x2fb73b15, v46, v58 op_sel_hi:[1,0,1] neg_lo:[0,0,1] neg_hi:[0,0,1]
	v_pk_fma_f16 v42, 0xb5ac2fb7, v44, v56 op_sel_hi:[1,0,1]
	v_pk_add_f16 v29, v14, v37
	v_pk_add_f16 v14, v30, v15
	v_pk_fma_f16 v30, 0xb9fdbbc4, v49, v57 op_sel_hi:[1,0,1]
	v_pk_add_f16 v15, v17, v16
	v_pk_add_f16 v17, v42, v0 op_sel:[0,1]
	v_pk_mul_f16 v31, 0xb3a8b94e, v31 op_sel_hi:[1,0]
	v_pk_mul_f16 v32, 0x37703bf1, v32 op_sel_hi:[1,0]
	;; [unrolled: 1-line block ×4, first 2 shown]
	v_pk_add_f16 v17, v30, v17
	v_pk_fma_f16 v30, 0x3b15b5ac, v47, v38 op_sel_hi:[1,0,1]
	v_pk_fma_f16 v38, 0xbbc4b9fd, v44, v31 op_sel_hi:[1,0,1]
	v_pk_fma_f16 v31, 0xbbc4b9fd, v44, v31 op_sel_hi:[1,0,1] neg_lo:[0,0,1] neg_hi:[0,0,1]
	v_pk_mul_f16 v39, 0x33a8ba95, v35 op_sel_hi:[1,0]
	v_pk_fma_f16 v37, 0x3b15bbc4, v41, v55 op_sel_hi:[1,0,1]
	v_pk_add_f16 v17, v30, v17
	v_pk_add_f16 v30, v38, v0 op_sel:[0,1]
	v_pk_fma_f16 v38, 0x3b152fb7, v49, v32 op_sel_hi:[1,0,1]
	v_pk_add_f16 v0, v31, v0 op_sel:[0,1]
	v_pk_fma_f16 v31, 0x3b152fb7, v49, v32 op_sel_hi:[1,0,1] neg_lo:[0,0,1] neg_hi:[0,0,1]
	v_pk_fma_f16 v32, 0x2fb73b15, v46, v58 op_sel_hi:[1,0,1]
	v_pk_fma_f16 v16, 0xbbc4388b, v43, v39 op_sel_hi:[1,0,1] neg_lo:[0,0,1] neg_hi:[0,0,1]
	v_pk_add_f16 v30, v38, v30
	v_pk_fma_f16 v38, 0xb9fd388b, v47, v33 op_sel_hi:[1,0,1]
	v_pk_add_f16 v0, v31, v0
	v_pk_fma_f16 v31, 0xb9fd388b, v47, v33 op_sel_hi:[1,0,1] neg_lo:[0,0,1] neg_hi:[0,0,1]
	v_pk_add_f16 v17, v32, v17
	v_pk_fma_f16 v32, 0x388bbbc4, v46, v34 op_sel_hi:[1,0,1]
	v_pk_add_f16 v30, v38, v30
	v_pk_mul_f16 v33, 0xbb7b3770, v35 op_sel_hi:[1,0]
	v_pk_add_f16 v0, v31, v0
	v_pk_fma_f16 v31, 0x388bbbc4, v46, v34 op_sel_hi:[1,0,1] neg_lo:[0,0,1] neg_hi:[0,0,1]
	v_pk_mul_f16 v35, 0x3bf1bb7b, v36 op_sel_hi:[1,0]
	v_pk_add_f16 v30, v32, v30
	v_pk_fma_f16 v32, 0xb5ac3b15, v43, v33 op_sel_hi:[1,0,1]
	v_pk_add_f16 v15, v16, v15
	v_pk_mul_f16 v16, 0x3a95b94e, v36 op_sel_hi:[1,0]
	v_pk_fma_f16 v34, 0xbbc4388b, v43, v39 op_sel_hi:[1,0,1]
	v_pk_add_f16 v0, v31, v0
	v_pk_fma_f16 v31, 0xb5ac3b15, v43, v33 op_sel_hi:[1,0,1] neg_lo:[0,0,1] neg_hi:[0,0,1]
	v_pk_add_f16 v30, v32, v30
	v_pk_fma_f16 v32, 0x2fb7b5ac, v41, v35 op_sel_hi:[1,0,1]
	v_pk_fma_f16 v42, 0x388bb9fd, v41, v16 op_sel_hi:[1,0,1] neg_lo:[0,0,1] neg_hi:[0,0,1]
	v_pk_add_f16 v17, v34, v17
	v_pk_fma_f16 v16, 0x388bb9fd, v41, v16 op_sel_hi:[1,0,1]
	v_pk_add_f16 v0, v31, v0
	v_pk_fma_f16 v31, 0x2fb7b5ac, v41, v35 op_sel_hi:[1,0,1] neg_lo:[0,0,1] neg_hi:[0,0,1]
	v_pk_add_f16 v32, v32, v30
	v_pk_add_f16 v14, v37, v14
	;; [unrolled: 1-line block ×5, first 2 shown]
	v_alignbit_b32 v32, v32, v32, 16
	s_waitcnt lgkmcnt(0)
	v_alignbit_b32 v15, v16, v16, 16
	v_alignbit_b32 v16, v14, v14, 16
	s_barrier
	buffer_gl0_inv
	ds_write_b16 v48, v40
	ds_write_b128 v48, v[29:32] offset:2
	ds_write_b64 v48, v[15:16] offset:18
	s_waitcnt lgkmcnt(0)
	s_barrier
	buffer_gl0_inv
	ds_read_u16 v33, v51
	ds_read_u16 v40, v50 offset:26
	ds_read_u16 v34, v50 offset:34
	;; [unrolled: 1-line block ×8, first 2 shown]
	ds_read_u16 v30, v53
	ds_read_u16 v29, v52
	ds_read_u16 v38, v50 offset:94
                                        ; implicit-def: $vgpr15
                                        ; implicit-def: $vgpr16
                                        ; implicit-def: $vgpr17
	s_and_saveexec_b32 s1, vcc_lo
	s_cbranch_execz .LBB0_17
; %bb.16:
	ds_read_u16 v14, v5 offset:24
	ds_read_u16 v15, v5 offset:50
	;; [unrolled: 1-line block ×4, first 2 shown]
.LBB0_17:
	s_or_b32 exec_lo, exec_lo, s1
	s_and_saveexec_b32 s1, s0
	s_cbranch_execz .LBB0_20
; %bb.18:
	v_mul_hi_u32 v0, 0x4ec4ec4f, v7
	v_mul_lo_u32 v43, s4, v4
	v_mul_i32_i24_e32 v4, 3, v12
	v_mov_b32_e32 v5, 0
	v_mul_lo_u32 v42, s5, v3
	v_mad_u64_u32 v[45:46], null, s4, v3, 0
	v_add_nc_u32_e32 v59, 4, v7
	v_lshrrev_b32_e32 v0, 2, v0
	v_add_nc_u32_e32 v63, 8, v7
	v_mul_u32_u24_e32 v31, 3, v7
	v_mul_hi_u32 v53, 0x4ec4ec4f, v59
	v_mul_lo_u32 v0, v0, 13
	v_add3_u32 v46, v46, v43, v42
	v_lshrrev_b32_e32 v60, 2, v53
	v_sub_nc_u32_e32 v12, v7, v0
	v_lshlrev_b64 v[0:1], 2, v[1:2]
	v_lshlrev_b64 v[2:3], 2, v[4:5]
	v_mul_i32_i24_e32 v4, 3, v8
	v_lshlrev_b32_e32 v8, 2, v31
	v_mad_u64_u32 v[47:48], null, s2, v12, 0
	v_add_nc_u32_e32 v61, 13, v12
	v_lshlrev_b64 v[49:50], 2, v[4:5]
	v_add_co_u32 v51, s0, s8, v2
	v_add_co_ci_u32_e64 v52, s0, s9, v3, s0
	v_mov_b32_e32 v4, v48
	v_lshlrev_b64 v[2:3], 2, v[45:46]
	v_add_co_u32 v49, s0, s8, v49
	v_add_co_ci_u32_e64 v50, s0, s9, v50, s0
	v_mad_u64_u32 v[45:46], null, s3, v12, v[4:5]
	v_mul_lo_u32 v4, v60, 13
	v_add_co_u32 v2, s0, s14, v2
	v_add_co_ci_u32_e64 v3, s0, s15, v3, s0
	v_add_nc_u32_e32 v62, 26, v12
	v_mov_b32_e32 v48, v45
	v_add_nc_u32_e32 v64, 39, v12
	v_add_co_u32 v2, s0, v2, v0
	v_mad_u64_u32 v[53:54], null, s2, v61, 0
	v_add_co_ci_u32_e64 v3, s0, v3, v1, s0
	v_lshlrev_b64 v[0:1], 2, v[47:48]
	v_mad_u64_u32 v[55:56], null, s2, v62, 0
	v_mad_u64_u32 v[57:58], null, s2, v64, 0
	v_sub_nc_u32_e32 v4, v59, v4
	v_mul_hi_u32 v48, 0x4ec4ec4f, v63
	global_load_dwordx3 v[42:44], v8, s[8:9]
	v_mov_b32_e32 v8, v54
	v_mov_b32_e32 v12, v56
	v_mad_u64_u32 v[45:46], null, v60, 52, v[4:5]
	v_mov_b32_e32 v4, v58
	v_mad_u64_u32 v[46:47], null, s3, v61, v[8:9]
	v_lshrrev_b32_e32 v65, 2, v48
	v_mad_u64_u32 v[47:48], null, s3, v62, v[12:13]
	v_mad_u64_u32 v[58:59], null, s3, v64, v[4:5]
	v_add_nc_u32_e32 v12, 13, v45
	v_mul_lo_u32 v4, v65, 13
	v_mad_u64_u32 v[59:60], null, s2, v45, 0
	v_mov_b32_e32 v54, v46
	v_mad_u64_u32 v[61:62], null, s2, v12, 0
	v_add_nc_u32_e32 v46, 26, v45
	v_add_nc_u32_e32 v48, 39, v45
	v_sub_nc_u32_e32 v4, v63, v4
	v_mov_b32_e32 v8, v60
	v_mov_b32_e32 v56, v47
	v_mad_u64_u32 v[63:64], null, s2, v46, 0
	v_mad_u64_u32 v[65:66], null, v65, 52, v[4:5]
	v_mov_b32_e32 v4, v62
	v_mad_u64_u32 v[66:67], null, s3, v45, v[8:9]
	v_add_co_u32 v0, s0, v2, v0
	v_mad_u64_u32 v[67:68], null, s3, v12, v[4:5]
	v_mad_u64_u32 v[68:69], null, s2, v48, 0
	v_mov_b32_e32 v4, v64
	v_add_nc_u32_e32 v12, 13, v65
	v_add_nc_u32_e32 v60, 26, v65
	v_mad_u64_u32 v[75:76], null, s2, v65, 0
	v_mad_u64_u32 v[72:73], null, s3, v46, v[4:5]
	v_mov_b32_e32 v4, v69
	global_load_dwordx3 v[45:47], v[51:52], off
	v_mad_u64_u32 v[70:71], null, s2, v12, 0
	v_mad_u64_u32 v[73:74], null, s2, v60, 0
	;; [unrolled: 1-line block ×3, first 2 shown]
	global_load_dwordx3 v[48:50], v[49:50], off
	v_lshlrev_b64 v[52:53], 2, v[53:54]
	v_mov_b32_e32 v8, v71
	v_lshlrev_b64 v[54:55], 2, v[55:56]
	v_mov_b32_e32 v4, v74
	v_lshlrev_b64 v[56:57], 2, v[57:58]
	v_mov_b32_e32 v62, v67
	v_mad_u64_u32 v[77:78], null, s3, v12, v[8:9]
	v_mad_u64_u32 v[78:79], null, s3, v60, v[4:5]
	v_mov_b32_e32 v4, v76
	v_add_nc_u32_e32 v8, 39, v65
	v_mov_b32_e32 v60, v66
	v_mov_b32_e32 v64, v72
	;; [unrolled: 1-line block ×3, first 2 shown]
	v_mad_u64_u32 v[79:80], null, s3, v65, v[4:5]
	v_mad_u64_u32 v[65:66], null, s2, v8, 0
	v_lshlrev_b64 v[58:59], 2, v[59:60]
	v_mov_b32_e32 v71, v77
	v_mov_b32_e32 v74, v78
	v_lshlrev_b64 v[60:61], 2, v[61:62]
	v_mov_b32_e32 v76, v79
	v_lshlrev_b64 v[62:63], 2, v[63:64]
	v_mov_b32_e32 v4, v66
	v_add_co_u32 v58, s1, v2, v58
	v_lshlrev_b64 v[75:76], 2, v[75:76]
	v_add_co_ci_u32_e64 v59, s1, v3, v59, s1
	v_mad_u64_u32 v[79:80], null, s3, v8, v[4:5]
	v_lshlrev_b64 v[67:68], 2, v[68:69]
	v_lshlrev_b64 v[69:70], 2, v[70:71]
	v_lshlrev_b64 v[71:72], 2, v[73:74]
	v_add_co_u32 v73, s1, v2, v75
	v_add_co_ci_u32_e64 v74, s1, v3, v76, s1
	v_add_co_u32 v60, s1, v2, v60
	v_mov_b32_e32 v66, v79
	v_add_co_ci_u32_e64 v61, s1, v3, v61, s1
	v_add_co_u32 v62, s1, v2, v62
	v_add_co_ci_u32_e64 v63, s1, v3, v63, s1
	v_lshlrev_b64 v[64:65], 2, v[65:66]
	v_add_co_u32 v66, s1, v2, v67
	v_add_co_ci_u32_e64 v67, s1, v3, v68, s1
	v_add_co_u32 v68, s1, v2, v69
	v_add_co_ci_u32_e64 v69, s1, v3, v70, s1
	;; [unrolled: 2-line block ×3, first 2 shown]
	v_add_co_ci_u32_e64 v1, s0, v3, v1, s0
	v_add_co_u32 v52, s0, v2, v52
	v_add_co_ci_u32_e64 v53, s0, v3, v53, s0
	v_add_co_u32 v54, s0, v2, v54
	v_add_nc_u32_e32 v8, 12, v7
	v_add_co_ci_u32_e64 v55, s0, v3, v55, s0
	v_add_co_u32 v56, s0, v2, v56
	v_add_co_ci_u32_e64 v57, s0, v3, v57, s0
	v_cmp_gt_u32_e64 s0, 13, v8
	v_add_co_u32 v64, s1, v2, v64
	v_add_co_ci_u32_e64 v65, s1, v3, v65, s1
	s_waitcnt vmcnt(2)
	v_mul_f16_sdwa v72, v28, v44 dst_sel:DWORD dst_unused:UNUSED_PAD src0_sel:DWORD src1_sel:WORD_1
	s_waitcnt lgkmcnt(4)
	v_mul_f16_sdwa v76, v41, v44 dst_sel:DWORD dst_unused:UNUSED_PAD src0_sel:DWORD src1_sel:WORD_1
	v_lshrrev_b32_e32 v4, 16, v43
	v_mul_f16_e32 v12, v27, v43
	v_mul_f16_sdwa v51, v26, v42 dst_sel:DWORD dst_unused:UNUSED_PAD src0_sel:DWORD src1_sel:WORD_1
	v_mul_f16_sdwa v75, v40, v42 dst_sel:DWORD dst_unused:UNUSED_PAD src0_sel:DWORD src1_sel:WORD_1
	v_fma_f16 v41, v41, v44, -v72
	v_fmac_f16_e32 v76, v28, v44
	v_fmac_f16_e32 v12, v39, v4
	v_fma_f16 v40, v40, v42, -v51
	v_mul_f16_e32 v4, v27, v4
	v_fmac_f16_e32 v75, v26, v42
	v_sub_f16_e32 v12, v22, v12
	v_sub_f16_e32 v41, v40, v41
	v_fma_f16 v4, v39, v43, -v4
	v_sub_f16_e32 v39, v75, v76
	v_fma_f16 v22, v22, 2.0, -v12
	v_fma_f16 v40, v40, 2.0, -v41
	v_sub_f16_e32 v4, v33, v4
	s_waitcnt vmcnt(1)
	v_mul_f16_sdwa v44, v37, v45 dst_sel:DWORD dst_unused:UNUSED_PAD src0_sel:DWORD src1_sel:WORD_1
	v_lshrrev_b32_e32 v26, 16, v46
	v_mul_f16_e32 v27, v24, v46
	v_mul_f16_sdwa v28, v23, v45 dst_sel:DWORD dst_unused:UNUSED_PAD src0_sel:DWORD src1_sel:WORD_1
	v_mul_f16_sdwa v42, v25, v47 dst_sel:DWORD dst_unused:UNUSED_PAD src0_sel:DWORD src1_sel:WORD_1
	s_waitcnt lgkmcnt(0)
	v_mul_f16_sdwa v51, v38, v47 dst_sel:DWORD dst_unused:UNUSED_PAD src0_sel:DWORD src1_sel:WORD_1
	v_fmac_f16_e32 v44, v23, v45
	s_waitcnt vmcnt(0)
	v_lshrrev_b32_e32 v23, 16, v49
	v_fmac_f16_e32 v27, v36, v26
	v_fma_f16 v28, v37, v45, -v28
	v_fma_f16 v37, v38, v47, -v42
	v_mul_f16_e32 v24, v24, v26
	v_fmac_f16_e32 v51, v25, v47
	v_mul_f16_e32 v25, v21, v49
	v_mul_f16_sdwa v26, v19, v48 dst_sel:DWORD dst_unused:UNUSED_PAD src0_sel:DWORD src1_sel:WORD_1
	v_mul_f16_sdwa v38, v20, v50 dst_sel:DWORD dst_unused:UNUSED_PAD src0_sel:DWORD src1_sel:WORD_1
	v_mul_f16_sdwa v42, v34, v48 dst_sel:DWORD dst_unused:UNUSED_PAD src0_sel:DWORD src1_sel:WORD_1
	v_mul_f16_sdwa v43, v35, v50 dst_sel:DWORD dst_unused:UNUSED_PAD src0_sel:DWORD src1_sel:WORD_1
	v_mul_f16_e32 v21, v21, v23
	v_fma_f16 v24, v36, v46, -v24
	v_fmac_f16_e32 v25, v32, v23
	v_fma_f16 v26, v34, v48, -v26
	v_fma_f16 v34, v35, v50, -v38
	v_fmac_f16_e32 v42, v19, v48
	v_fmac_f16_e32 v43, v20, v50
	v_fma_f16 v21, v32, v49, -v21
	v_add_f16_e32 v45, v12, v41
	v_fma_f16 v47, v75, 2.0, -v39
	v_sub_f16_e32 v27, v18, v27
	v_sub_f16_e32 v37, v28, v37
	;; [unrolled: 1-line block ×4, first 2 shown]
	v_fma_f16 v23, v33, 2.0, -v4
	v_sub_f16_e32 v24, v30, v24
	v_sub_f16_e32 v25, v13, v25
	;; [unrolled: 1-line block ×5, first 2 shown]
	v_fma_f16 v12, v12, 2.0, -v45
	v_sub_f16_e32 v20, v22, v47
	v_add_f16_e32 v33, v27, v37
	v_fma_f16 v35, v44, 2.0, -v36
	v_fma_f16 v28, v28, 2.0, -v37
	;; [unrolled: 1-line block ×3, first 2 shown]
	v_sub_f16_e32 v37, v23, v40
	v_sub_f16_e32 v36, v24, v36
	v_fma_f16 v30, v30, 2.0, -v24
	v_fma_f16 v13, v13, 2.0, -v25
	;; [unrolled: 1-line block ×9, first 2 shown]
	v_pack_b32_f16 v4, v12, v4
	v_pack_b32_f16 v12, v20, v37
	v_fma_f16 v20, v24, 2.0, -v36
	v_sub_f16_e32 v24, v30, v28
	v_sub_f16_e32 v28, v21, v32
	;; [unrolled: 1-line block ×4, first 2 shown]
	v_add_f16_e32 v38, v25, v34
	v_sub_f16_e32 v35, v18, v35
	v_pack_b32_f16 v22, v22, v23
	v_fma_f16 v13, v13, 2.0, -v32
	v_pack_b32_f16 v20, v27, v20
	v_fma_f16 v27, v29, 2.0, -v26
	v_fma_f16 v25, v25, 2.0, -v38
	;; [unrolled: 1-line block ×5, first 2 shown]
	v_pack_b32_f16 v19, v45, v19
	global_store_dword v[0:1], v22, off
	global_store_dword v[52:53], v4, off
	;; [unrolled: 1-line block ×3, first 2 shown]
	v_pack_b32_f16 v0, v13, v27
	v_pack_b32_f16 v1, v25, v21
	;; [unrolled: 1-line block ×7, first 2 shown]
	global_store_dword v[56:57], v19, off
	global_store_dword v[58:59], v0, off
	;; [unrolled: 1-line block ×9, first 2 shown]
	s_and_b32 exec_lo, exec_lo, s0
	s_cbranch_execz .LBB0_20
; %bb.19:
	v_add_nc_u32_e32 v0, -3, v31
	v_add_nc_u32_e32 v24, 38, v7
	v_add_nc_u32_e32 v23, 25, v7
	;; [unrolled: 1-line block ×3, first 2 shown]
	v_cndmask_b32_e64 v4, v0, 36, vcc_lo
	v_mad_u64_u32 v[12:13], null, s2, v24, 0
	v_mad_u64_u32 v[21:22], null, s2, v25, 0
	v_lshlrev_b64 v[0:1], 2, v[4:5]
	v_mad_u64_u32 v[4:5], null, s2, v23, 0
	v_add_co_u32 v0, vcc_lo, s8, v0
	v_add_co_ci_u32_e32 v1, vcc_lo, s9, v1, vcc_lo
	global_load_dwordx3 v[18:20], v[0:1], off
	v_mad_u64_u32 v[0:1], null, s2, v8, 0
	v_mad_u64_u32 v[7:8], null, s3, v8, v[1:2]
	v_mov_b32_e32 v1, v13
	v_mov_b32_e32 v8, v22
	v_mad_u64_u32 v[22:23], null, s3, v23, v[5:6]
	v_mad_u64_u32 v[23:24], null, s3, v24, v[1:2]
	v_mad_u64_u32 v[24:25], null, s3, v25, v[8:9]
	v_mov_b32_e32 v1, v7
	v_mov_b32_e32 v5, v22
	;; [unrolled: 1-line block ×3, first 2 shown]
	v_lshlrev_b64 v[0:1], 2, v[0:1]
	v_mov_b32_e32 v22, v24
	v_lshlrev_b64 v[4:5], 2, v[4:5]
	v_lshlrev_b64 v[7:8], 2, v[12:13]
	v_add_co_u32 v0, vcc_lo, v2, v0
	v_add_co_ci_u32_e32 v1, vcc_lo, v3, v1, vcc_lo
	v_add_co_u32 v4, vcc_lo, v2, v4
	v_add_co_ci_u32_e32 v5, vcc_lo, v3, v5, vcc_lo
	s_waitcnt vmcnt(0)
	v_mul_f16_sdwa v12, v15, v18 dst_sel:DWORD dst_unused:UNUSED_PAD src0_sel:DWORD src1_sel:WORD_1
	v_mul_f16_sdwa v13, v9, v18 dst_sel:DWORD dst_unused:UNUSED_PAD src0_sel:DWORD src1_sel:WORD_1
	;; [unrolled: 1-line block ×6, first 2 shown]
	v_fmac_f16_e32 v12, v9, v18
	v_fma_f16 v13, v15, v18, -v13
	v_fmac_f16_e32 v23, v10, v19
	v_fma_f16 v15, v16, v19, -v24
	;; [unrolled: 2-line block ×3, first 2 shown]
	v_lshlrev_b64 v[9:10], 2, v[21:22]
	v_sub_f16_e32 v16, v6, v23
	v_sub_f16_e32 v15, v14, v15
	;; [unrolled: 1-line block ×4, first 2 shown]
	v_fma_f16 v18, v6, 2.0, -v16
	v_fma_f16 v14, v14, 2.0, -v15
	;; [unrolled: 1-line block ×4, first 2 shown]
	v_add_f16_e32 v11, v16, v11
	v_sub_f16_e32 v13, v15, v17
	v_sub_f16_e32 v17, v18, v6
	v_sub_f16_e32 v12, v14, v12
	v_add_co_u32 v6, vcc_lo, v2, v7
	v_add_co_ci_u32_e32 v7, vcc_lo, v3, v8, vcc_lo
	v_fma_f16 v8, v16, 2.0, -v11
	v_fma_f16 v16, v18, 2.0, -v17
	;; [unrolled: 1-line block ×4, first 2 shown]
	v_add_co_u32 v2, vcc_lo, v2, v9
	v_add_co_ci_u32_e32 v3, vcc_lo, v3, v10, vcc_lo
	v_pack_b32_f16 v9, v16, v14
	v_pack_b32_f16 v8, v8, v15
	;; [unrolled: 1-line block ×4, first 2 shown]
	global_store_dword v[0:1], v9, off
	global_store_dword v[4:5], v8, off
	;; [unrolled: 1-line block ×4, first 2 shown]
.LBB0_20:
	s_endpgm
	.section	.rodata,"a",@progbits
	.p2align	6, 0x0
	.amdhsa_kernel fft_rtc_back_len52_factors_13_4_wgs_64_tpt_4_halfLds_half_op_CI_CI_sbrr_dirReg
		.amdhsa_group_segment_fixed_size 0
		.amdhsa_private_segment_fixed_size 0
		.amdhsa_kernarg_size 104
		.amdhsa_user_sgpr_count 6
		.amdhsa_user_sgpr_private_segment_buffer 1
		.amdhsa_user_sgpr_dispatch_ptr 0
		.amdhsa_user_sgpr_queue_ptr 0
		.amdhsa_user_sgpr_kernarg_segment_ptr 1
		.amdhsa_user_sgpr_dispatch_id 0
		.amdhsa_user_sgpr_flat_scratch_init 0
		.amdhsa_user_sgpr_private_segment_size 0
		.amdhsa_wavefront_size32 1
		.amdhsa_uses_dynamic_stack 0
		.amdhsa_system_sgpr_private_segment_wavefront_offset 0
		.amdhsa_system_sgpr_workgroup_id_x 1
		.amdhsa_system_sgpr_workgroup_id_y 0
		.amdhsa_system_sgpr_workgroup_id_z 0
		.amdhsa_system_sgpr_workgroup_info 0
		.amdhsa_system_vgpr_workitem_id 0
		.amdhsa_next_free_vgpr 81
		.amdhsa_next_free_sgpr 31
		.amdhsa_reserve_vcc 1
		.amdhsa_reserve_flat_scratch 0
		.amdhsa_float_round_mode_32 0
		.amdhsa_float_round_mode_16_64 0
		.amdhsa_float_denorm_mode_32 3
		.amdhsa_float_denorm_mode_16_64 3
		.amdhsa_dx10_clamp 1
		.amdhsa_ieee_mode 1
		.amdhsa_fp16_overflow 0
		.amdhsa_workgroup_processor_mode 1
		.amdhsa_memory_ordered 1
		.amdhsa_forward_progress 0
		.amdhsa_shared_vgpr_count 0
		.amdhsa_exception_fp_ieee_invalid_op 0
		.amdhsa_exception_fp_denorm_src 0
		.amdhsa_exception_fp_ieee_div_zero 0
		.amdhsa_exception_fp_ieee_overflow 0
		.amdhsa_exception_fp_ieee_underflow 0
		.amdhsa_exception_fp_ieee_inexact 0
		.amdhsa_exception_int_div_zero 0
	.end_amdhsa_kernel
	.text
.Lfunc_end0:
	.size	fft_rtc_back_len52_factors_13_4_wgs_64_tpt_4_halfLds_half_op_CI_CI_sbrr_dirReg, .Lfunc_end0-fft_rtc_back_len52_factors_13_4_wgs_64_tpt_4_halfLds_half_op_CI_CI_sbrr_dirReg
                                        ; -- End function
	.section	.AMDGPU.csdata,"",@progbits
; Kernel info:
; codeLenInByte = 6812
; NumSgprs: 33
; NumVgprs: 81
; ScratchSize: 0
; MemoryBound: 0
; FloatMode: 240
; IeeeMode: 1
; LDSByteSize: 0 bytes/workgroup (compile time only)
; SGPRBlocks: 4
; VGPRBlocks: 10
; NumSGPRsForWavesPerEU: 33
; NumVGPRsForWavesPerEU: 81
; Occupancy: 10
; WaveLimiterHint : 1
; COMPUTE_PGM_RSRC2:SCRATCH_EN: 0
; COMPUTE_PGM_RSRC2:USER_SGPR: 6
; COMPUTE_PGM_RSRC2:TRAP_HANDLER: 0
; COMPUTE_PGM_RSRC2:TGID_X_EN: 1
; COMPUTE_PGM_RSRC2:TGID_Y_EN: 0
; COMPUTE_PGM_RSRC2:TGID_Z_EN: 0
; COMPUTE_PGM_RSRC2:TIDIG_COMP_CNT: 0
	.text
	.p2alignl 6, 3214868480
	.fill 48, 4, 3214868480
	.type	__hip_cuid_d8441eee8afd3f5,@object ; @__hip_cuid_d8441eee8afd3f5
	.section	.bss,"aw",@nobits
	.globl	__hip_cuid_d8441eee8afd3f5
__hip_cuid_d8441eee8afd3f5:
	.byte	0                               ; 0x0
	.size	__hip_cuid_d8441eee8afd3f5, 1

	.ident	"AMD clang version 19.0.0git (https://github.com/RadeonOpenCompute/llvm-project roc-6.4.0 25133 c7fe45cf4b819c5991fe208aaa96edf142730f1d)"
	.section	".note.GNU-stack","",@progbits
	.addrsig
	.addrsig_sym __hip_cuid_d8441eee8afd3f5
	.amdgpu_metadata
---
amdhsa.kernels:
  - .args:
      - .actual_access:  read_only
        .address_space:  global
        .offset:         0
        .size:           8
        .value_kind:     global_buffer
      - .offset:         8
        .size:           8
        .value_kind:     by_value
      - .actual_access:  read_only
        .address_space:  global
        .offset:         16
        .size:           8
        .value_kind:     global_buffer
      - .actual_access:  read_only
        .address_space:  global
        .offset:         24
        .size:           8
        .value_kind:     global_buffer
      - .actual_access:  read_only
        .address_space:  global
        .offset:         32
        .size:           8
        .value_kind:     global_buffer
      - .offset:         40
        .size:           8
        .value_kind:     by_value
      - .actual_access:  read_only
        .address_space:  global
        .offset:         48
        .size:           8
        .value_kind:     global_buffer
      - .actual_access:  read_only
        .address_space:  global
        .offset:         56
        .size:           8
        .value_kind:     global_buffer
      - .offset:         64
        .size:           4
        .value_kind:     by_value
      - .actual_access:  read_only
        .address_space:  global
        .offset:         72
        .size:           8
        .value_kind:     global_buffer
      - .actual_access:  read_only
        .address_space:  global
        .offset:         80
        .size:           8
        .value_kind:     global_buffer
      - .actual_access:  read_only
        .address_space:  global
        .offset:         88
        .size:           8
        .value_kind:     global_buffer
      - .actual_access:  write_only
        .address_space:  global
        .offset:         96
        .size:           8
        .value_kind:     global_buffer
    .group_segment_fixed_size: 0
    .kernarg_segment_align: 8
    .kernarg_segment_size: 104
    .language:       OpenCL C
    .language_version:
      - 2
      - 0
    .max_flat_workgroup_size: 64
    .name:           fft_rtc_back_len52_factors_13_4_wgs_64_tpt_4_halfLds_half_op_CI_CI_sbrr_dirReg
    .private_segment_fixed_size: 0
    .sgpr_count:     33
    .sgpr_spill_count: 0
    .symbol:         fft_rtc_back_len52_factors_13_4_wgs_64_tpt_4_halfLds_half_op_CI_CI_sbrr_dirReg.kd
    .uniform_work_group_size: 1
    .uses_dynamic_stack: false
    .vgpr_count:     81
    .vgpr_spill_count: 0
    .wavefront_size: 32
    .workgroup_processor_mode: 1
amdhsa.target:   amdgcn-amd-amdhsa--gfx1030
amdhsa.version:
  - 1
  - 2
...

	.end_amdgpu_metadata
